;; amdgpu-corpus repo=llvm/llvm-project kind=harvested arch=n/a opt=n/a
// NOTE: Assertions have been autogenerated by utils/update_mc_test_checks.py UTC_ARGS: --version 5
// RUN: not llvm-mc -triple=amdgcn -mcpu=gfx1250 -filetype=null %s 2>&1 | FileCheck --check-prefix=GFX12-ERR --implicit-check-not=error: --strict-whitespace %s

v_pk_fma_f32 v[8:9], s[0:1], v[0:1], v[4:5]
// GFX12-ERR: :[[@LINE-1]]:1: error: invalid op_sel operand

v_pk_fma_f32 v[8:9], v[0:1], s[0:1], v[4:5]
// GFX12-ERR: :[[@LINE-1]]:1: error: invalid op_sel operand
	;; [unrolled: 3-line block ×3, first 2 shown]

v_pk_fma_f32 v[8:9], s[0:1], v[0:1], v[4:5] op_sel:[1,0,0] op_sel_hi:[0,0,0]
// GFX12-ERR: :[[@LINE-1]]:45: error: invalid op_sel operand

v_pk_fma_f32 v[8:9], s[0:1], v[0:1], v[4:5] op_sel:[1,0,0] op_sel_hi:[1,0,0]
// GFX12-ERR: :[[@LINE-1]]:45: error: invalid op_sel operand
	;; [unrolled: 3-line block ×4, first 2 shown]

v_pk_mul_f32 v[8:9], s[0:1], v[0:1]
// GFX12-ERR: :[[@LINE-1]]:1: error: invalid op_sel operand

v_pk_mul_f32 v[8:9], v[0:1], s[0:1]
// GFX12-ERR: :[[@LINE-1]]:1: error: invalid op_sel operand

v_pk_mul_f32 v[8:9], s[0:1], v[0:1] op_sel:[1,0] op_sel_hi:[0,0]
// GFX12-ERR: :[[@LINE-1]]:37: error: invalid op_sel operand

v_pk_mul_f32 v[8:9], v[0:1], s[0:1] op_sel:[0,1] op_sel_hi:[0,0]
	;; [unrolled: 3-line block ×3, first 2 shown]
// GFX12-ERR: :[[@LINE-1]]:37: error: invalid op_sel operand

v_pk_add_f32 v[8:9], s[0:1], v[0:1]
// GFX12-ERR: :[[@LINE-1]]:1: error: invalid op_sel operand

v_pk_add_f32 v[8:9], v[0:1], s[0:1]
// GFX12-ERR: :[[@LINE-1]]:1: error: invalid op_sel operand

v_pk_add_f32 v[8:9], s[0:1], v[0:1] op_sel:[1,0] op_sel_hi:[0,0]
// GFX12-ERR: :[[@LINE-1]]:37: error: invalid op_sel operand

v_pk_add_f32 v[8:9], v[0:1], s[0:1] op_sel:[0,1] op_sel_hi:[0,0]
	;; [unrolled: 3-line block ×3, first 2 shown]
// GFX12-ERR: :[[@LINE-1]]:37: error: invalid op_sel operand

v_pk_fma_f32 v[8:9], exec, v[0:1], v[4:5]
// GFX12-ERR: :[[@LINE-1]]:1: error: invalid op_sel operand

v_pk_fma_f32 v[8:9], v[0:1], exec, v[4:5]
// GFX12-ERR: :[[@LINE-1]]:1: error: invalid op_sel operand

v_pk_fma_f32 v[8:9], v[0:1], v[4:5], exec
// GFX12-ERR: :[[@LINE-1]]:1: error: invalid op_sel operand

v_pk_mul_f32 v[8:9], exec, v[0:1]
// GFX12-ERR: :[[@LINE-1]]:1: error: invalid op_sel operand

v_pk_mul_f32 v[8:9], v[0:1], exec
// GFX12-ERR: :[[@LINE-1]]:1: error: invalid op_sel operand

v_pk_add_f32 v[8:9], exec, v[0:1]
// GFX12-ERR: :[[@LINE-1]]:1: error: invalid op_sel operand

v_pk_add_f32 v[8:9], v[0:1], exec
// GFX12-ERR: :[[@LINE-1]]:1: error: invalid op_sel operand
